;; amdgpu-corpus repo=ROCm/rocFFT kind=compiled arch=gfx906 opt=O3
	.text
	.amdgcn_target "amdgcn-amd-amdhsa--gfx906"
	.amdhsa_code_object_version 6
	.protected	fft_rtc_fwd_len624_factors_13_4_6_2_wgs_52_tpt_52_sp_op_CI_CI_unitstride_sbrr_dirReg ; -- Begin function fft_rtc_fwd_len624_factors_13_4_6_2_wgs_52_tpt_52_sp_op_CI_CI_unitstride_sbrr_dirReg
	.globl	fft_rtc_fwd_len624_factors_13_4_6_2_wgs_52_tpt_52_sp_op_CI_CI_unitstride_sbrr_dirReg
	.p2align	8
	.type	fft_rtc_fwd_len624_factors_13_4_6_2_wgs_52_tpt_52_sp_op_CI_CI_unitstride_sbrr_dirReg,@function
fft_rtc_fwd_len624_factors_13_4_6_2_wgs_52_tpt_52_sp_op_CI_CI_unitstride_sbrr_dirReg: ; @fft_rtc_fwd_len624_factors_13_4_6_2_wgs_52_tpt_52_sp_op_CI_CI_unitstride_sbrr_dirReg
; %bb.0:
	s_load_dwordx4 s[8:11], s[4:5], 0x58
	s_load_dwordx4 s[12:15], s[4:5], 0x0
	;; [unrolled: 1-line block ×3, first 2 shown]
	v_mul_u32_u24_e32 v1, 0x4ed, v0
	v_mov_b32_e32 v3, 0
	v_mov_b32_e32 v33, 0
	s_waitcnt lgkmcnt(0)
	v_cmp_lt_u64_e64 s[0:1], s[14:15], 2
	v_add_u32_sdwa v7, s6, v1 dst_sel:DWORD dst_unused:UNUSED_PAD src0_sel:DWORD src1_sel:WORD_1
	v_mov_b32_e32 v8, v3
	s_and_b64 vcc, exec, s[0:1]
	v_mov_b32_e32 v34, 0
	s_cbranch_vccnz .LBB0_8
; %bb.1:
	s_load_dwordx2 s[0:1], s[4:5], 0x10
	s_add_u32 s2, s18, 8
	s_addc_u32 s3, s19, 0
	s_add_u32 s6, s16, 8
	s_addc_u32 s7, s17, 0
	v_mov_b32_e32 v33, 0
	s_waitcnt lgkmcnt(0)
	s_add_u32 s20, s0, 8
	v_mov_b32_e32 v34, 0
	v_mov_b32_e32 v1, v33
	s_addc_u32 s21, s1, 0
	s_mov_b64 s[22:23], 1
	v_mov_b32_e32 v2, v34
.LBB0_2:                                ; =>This Inner Loop Header: Depth=1
	s_load_dwordx2 s[24:25], s[20:21], 0x0
                                        ; implicit-def: $vgpr5_vgpr6
	s_waitcnt lgkmcnt(0)
	v_or_b32_e32 v4, s25, v8
	v_cmp_ne_u64_e32 vcc, 0, v[3:4]
	s_and_saveexec_b64 s[0:1], vcc
	s_xor_b64 s[26:27], exec, s[0:1]
	s_cbranch_execz .LBB0_4
; %bb.3:                                ;   in Loop: Header=BB0_2 Depth=1
	v_cvt_f32_u32_e32 v4, s24
	v_cvt_f32_u32_e32 v5, s25
	s_sub_u32 s0, 0, s24
	s_subb_u32 s1, 0, s25
	v_mac_f32_e32 v4, 0x4f800000, v5
	v_rcp_f32_e32 v4, v4
	v_mul_f32_e32 v4, 0x5f7ffffc, v4
	v_mul_f32_e32 v5, 0x2f800000, v4
	v_trunc_f32_e32 v5, v5
	v_mac_f32_e32 v4, 0xcf800000, v5
	v_cvt_u32_f32_e32 v5, v5
	v_cvt_u32_f32_e32 v4, v4
	v_mul_lo_u32 v6, s0, v5
	v_mul_hi_u32 v9, s0, v4
	v_mul_lo_u32 v11, s1, v4
	v_mul_lo_u32 v10, s0, v4
	v_add_u32_e32 v6, v9, v6
	v_add_u32_e32 v6, v6, v11
	v_mul_hi_u32 v9, v4, v10
	v_mul_lo_u32 v11, v4, v6
	v_mul_hi_u32 v13, v4, v6
	v_mul_hi_u32 v12, v5, v10
	v_mul_lo_u32 v10, v5, v10
	v_mul_hi_u32 v14, v5, v6
	v_add_co_u32_e32 v9, vcc, v9, v11
	v_addc_co_u32_e32 v11, vcc, 0, v13, vcc
	v_mul_lo_u32 v6, v5, v6
	v_add_co_u32_e32 v9, vcc, v9, v10
	v_addc_co_u32_e32 v9, vcc, v11, v12, vcc
	v_addc_co_u32_e32 v10, vcc, 0, v14, vcc
	v_add_co_u32_e32 v6, vcc, v9, v6
	v_addc_co_u32_e32 v9, vcc, 0, v10, vcc
	v_add_co_u32_e32 v4, vcc, v4, v6
	v_addc_co_u32_e32 v5, vcc, v5, v9, vcc
	v_mul_lo_u32 v6, s0, v5
	v_mul_hi_u32 v9, s0, v4
	v_mul_lo_u32 v10, s1, v4
	v_mul_lo_u32 v11, s0, v4
	v_add_u32_e32 v6, v9, v6
	v_add_u32_e32 v6, v6, v10
	v_mul_lo_u32 v12, v4, v6
	v_mul_hi_u32 v13, v4, v11
	v_mul_hi_u32 v14, v4, v6
	v_mul_hi_u32 v10, v5, v11
	v_mul_lo_u32 v11, v5, v11
	v_mul_hi_u32 v9, v5, v6
	v_add_co_u32_e32 v12, vcc, v13, v12
	v_addc_co_u32_e32 v13, vcc, 0, v14, vcc
	v_mul_lo_u32 v6, v5, v6
	v_add_co_u32_e32 v11, vcc, v12, v11
	v_addc_co_u32_e32 v10, vcc, v13, v10, vcc
	v_addc_co_u32_e32 v9, vcc, 0, v9, vcc
	v_add_co_u32_e32 v6, vcc, v10, v6
	v_addc_co_u32_e32 v9, vcc, 0, v9, vcc
	v_add_co_u32_e32 v6, vcc, v4, v6
	v_addc_co_u32_e32 v9, vcc, v5, v9, vcc
	v_mad_u64_u32 v[4:5], s[0:1], v7, v9, 0
	v_mul_hi_u32 v10, v7, v6
	v_add_co_u32_e32 v11, vcc, v10, v4
	v_addc_co_u32_e32 v12, vcc, 0, v5, vcc
	v_mad_u64_u32 v[4:5], s[0:1], v8, v6, 0
	v_mad_u64_u32 v[9:10], s[0:1], v8, v9, 0
	v_add_co_u32_e32 v4, vcc, v11, v4
	v_addc_co_u32_e32 v4, vcc, v12, v5, vcc
	v_addc_co_u32_e32 v5, vcc, 0, v10, vcc
	v_add_co_u32_e32 v9, vcc, v4, v9
	v_addc_co_u32_e32 v6, vcc, 0, v5, vcc
	v_mul_lo_u32 v10, s25, v9
	v_mul_lo_u32 v11, s24, v6
	v_mad_u64_u32 v[4:5], s[0:1], s24, v9, 0
	v_add3_u32 v5, v5, v11, v10
	v_sub_u32_e32 v10, v8, v5
	v_mov_b32_e32 v11, s25
	v_sub_co_u32_e32 v4, vcc, v7, v4
	v_subb_co_u32_e64 v10, s[0:1], v10, v11, vcc
	v_subrev_co_u32_e64 v11, s[0:1], s24, v4
	v_subbrev_co_u32_e64 v10, s[0:1], 0, v10, s[0:1]
	v_cmp_le_u32_e64 s[0:1], s25, v10
	v_cndmask_b32_e64 v12, 0, -1, s[0:1]
	v_cmp_le_u32_e64 s[0:1], s24, v11
	v_cndmask_b32_e64 v11, 0, -1, s[0:1]
	v_cmp_eq_u32_e64 s[0:1], s25, v10
	v_cndmask_b32_e64 v10, v12, v11, s[0:1]
	v_add_co_u32_e64 v11, s[0:1], 2, v9
	v_addc_co_u32_e64 v12, s[0:1], 0, v6, s[0:1]
	v_add_co_u32_e64 v13, s[0:1], 1, v9
	v_addc_co_u32_e64 v14, s[0:1], 0, v6, s[0:1]
	v_subb_co_u32_e32 v5, vcc, v8, v5, vcc
	v_cmp_ne_u32_e64 s[0:1], 0, v10
	v_cmp_le_u32_e32 vcc, s25, v5
	v_cndmask_b32_e64 v10, v14, v12, s[0:1]
	v_cndmask_b32_e64 v12, 0, -1, vcc
	v_cmp_le_u32_e32 vcc, s24, v4
	v_cndmask_b32_e64 v4, 0, -1, vcc
	v_cmp_eq_u32_e32 vcc, s25, v5
	v_cndmask_b32_e32 v4, v12, v4, vcc
	v_cmp_ne_u32_e32 vcc, 0, v4
	v_cndmask_b32_e64 v4, v13, v11, s[0:1]
	v_cndmask_b32_e32 v6, v6, v10, vcc
	v_cndmask_b32_e32 v5, v9, v4, vcc
.LBB0_4:                                ;   in Loop: Header=BB0_2 Depth=1
	s_andn2_saveexec_b64 s[0:1], s[26:27]
	s_cbranch_execz .LBB0_6
; %bb.5:                                ;   in Loop: Header=BB0_2 Depth=1
	v_cvt_f32_u32_e32 v4, s24
	s_sub_i32 s26, 0, s24
	v_rcp_iflag_f32_e32 v4, v4
	v_mul_f32_e32 v4, 0x4f7ffffe, v4
	v_cvt_u32_f32_e32 v4, v4
	v_mul_lo_u32 v5, s26, v4
	v_mul_hi_u32 v5, v4, v5
	v_add_u32_e32 v4, v4, v5
	v_mul_hi_u32 v4, v7, v4
	v_mul_lo_u32 v5, v4, s24
	v_add_u32_e32 v6, 1, v4
	v_sub_u32_e32 v5, v7, v5
	v_subrev_u32_e32 v9, s24, v5
	v_cmp_le_u32_e32 vcc, s24, v5
	v_cndmask_b32_e32 v5, v5, v9, vcc
	v_cndmask_b32_e32 v4, v4, v6, vcc
	v_add_u32_e32 v6, 1, v4
	v_cmp_le_u32_e32 vcc, s24, v5
	v_cndmask_b32_e32 v5, v4, v6, vcc
	v_mov_b32_e32 v6, v3
.LBB0_6:                                ;   in Loop: Header=BB0_2 Depth=1
	s_or_b64 exec, exec, s[0:1]
	v_mul_lo_u32 v4, v6, s24
	v_mul_lo_u32 v11, v5, s25
	v_mad_u64_u32 v[9:10], s[0:1], v5, s24, 0
	s_load_dwordx2 s[0:1], s[6:7], 0x0
	s_load_dwordx2 s[24:25], s[2:3], 0x0
	v_add3_u32 v4, v10, v11, v4
	v_sub_co_u32_e32 v7, vcc, v7, v9
	v_subb_co_u32_e32 v4, vcc, v8, v4, vcc
	s_waitcnt lgkmcnt(0)
	v_mul_lo_u32 v8, s0, v4
	v_mul_lo_u32 v9, s1, v7
	v_mad_u64_u32 v[33:34], s[0:1], s0, v7, v[33:34]
	s_add_u32 s22, s22, 1
	s_addc_u32 s23, s23, 0
	s_add_u32 s2, s2, 8
	v_mul_lo_u32 v4, s24, v4
	v_mul_lo_u32 v10, s25, v7
	v_mad_u64_u32 v[1:2], s[0:1], s24, v7, v[1:2]
	v_add3_u32 v34, v9, v34, v8
	s_addc_u32 s3, s3, 0
	v_mov_b32_e32 v7, s14
	s_add_u32 s6, s6, 8
	v_mov_b32_e32 v8, s15
	s_addc_u32 s7, s7, 0
	v_cmp_ge_u64_e32 vcc, s[22:23], v[7:8]
	s_add_u32 s20, s20, 8
	v_add3_u32 v2, v10, v2, v4
	s_addc_u32 s21, s21, 0
	s_cbranch_vccnz .LBB0_9
; %bb.7:                                ;   in Loop: Header=BB0_2 Depth=1
	v_mov_b32_e32 v8, v6
	v_mov_b32_e32 v7, v5
	s_branch .LBB0_2
.LBB0_8:
	v_mov_b32_e32 v1, v33
	v_mov_b32_e32 v5, v7
	;; [unrolled: 1-line block ×4, first 2 shown]
.LBB0_9:
	s_mov_b32 s2, 0x4ec4ec5
	s_load_dwordx2 s[0:1], s[4:5], 0x28
	v_mul_hi_u32 v3, v0, s2
	s_lshl_b64 s[14:15], s[14:15], 3
	s_add_u32 s4, s18, s14
	s_addc_u32 s5, s19, s15
	v_mul_u32_u24_e32 v3, 52, v3
	s_waitcnt lgkmcnt(0)
	v_cmp_gt_u64_e64 s[0:1], s[0:1], v[5:6]
	v_sub_u32_e32 v3, v0, v3
	v_cmp_gt_u32_e64 s[2:3], 48, v3
	s_and_b64 s[18:19], s[0:1], s[2:3]
	v_mov_b32_e32 v8, 0
	v_mov_b32_e32 v7, 0
                                        ; implicit-def: $vgpr10
                                        ; implicit-def: $vgpr12
                                        ; implicit-def: $vgpr14
                                        ; implicit-def: $vgpr16
                                        ; implicit-def: $vgpr24
                                        ; implicit-def: $vgpr30
                                        ; implicit-def: $vgpr28
                                        ; implicit-def: $vgpr26
                                        ; implicit-def: $vgpr22
                                        ; implicit-def: $vgpr18
                                        ; implicit-def: $vgpr20
                                        ; implicit-def: $vgpr32
	s_and_saveexec_b64 s[6:7], s[18:19]
	s_cbranch_execz .LBB0_11
; %bb.10:
	s_add_u32 s14, s16, s14
	s_addc_u32 s15, s17, s15
	s_load_dwordx2 s[14:15], s[14:15], 0x0
	v_mov_b32_e32 v10, s9
	v_mov_b32_e32 v4, 0
	v_or_b32_e32 v15, 0x240, v3
	v_mov_b32_e32 v16, v4
	s_waitcnt lgkmcnt(0)
	v_mul_lo_u32 v0, s15, v5
	v_mul_lo_u32 v9, s14, v6
	v_mad_u64_u32 v[7:8], s[14:15], s14, v5, 0
	v_lshlrev_b64 v[15:16], 3, v[15:16]
	v_add3_u32 v8, v8, v9, v0
	v_lshlrev_b64 v[7:8], 3, v[7:8]
	v_add_co_u32_e32 v0, vcc, s8, v7
	v_addc_co_u32_e32 v9, vcc, v10, v8, vcc
	v_lshlrev_b64 v[7:8], 3, v[33:34]
	s_movk_i32 s8, 0x1000
	v_add_co_u32_e32 v0, vcc, v0, v7
	v_addc_co_u32_e32 v17, vcc, v9, v8, vcc
	v_lshlrev_b64 v[7:8], 3, v[3:4]
	v_add_co_u32_e32 v33, vcc, v0, v7
	v_addc_co_u32_e32 v34, vcc, v17, v8, vcc
	v_add_co_u32_e32 v35, vcc, v0, v15
	v_addc_co_u32_e32 v36, vcc, v17, v16, vcc
	v_add_co_u32_e32 v37, vcc, s8, v33
	global_load_dwordx2 v[7:8], v[33:34], off
	global_load_dwordx2 v[9:10], v[33:34], off offset:384
	global_load_dwordx2 v[11:12], v[33:34], off offset:768
	;; [unrolled: 1-line block ×3, first 2 shown]
	v_addc_co_u32_e32 v38, vcc, 0, v34, vcc
	global_load_dwordx2 v[15:16], v[33:34], off offset:1536
	global_load_dwordx2 v[23:24], v[33:34], off offset:1920
	;; [unrolled: 1-line block ×8, first 2 shown]
	global_load_dwordx2 v[17:18], v[35:36], off
.LBB0_11:
	s_or_b64 exec, exec, s[6:7]
	s_and_saveexec_b64 s[6:7], s[2:3]
	s_cbranch_execz .LBB0_13
; %bb.12:
	s_waitcnt vmcnt(11)
	v_add_f32_e32 v33, v8, v10
	s_waitcnt vmcnt(10)
	v_add_f32_e32 v33, v33, v12
	v_add_f32_e32 v34, v7, v9
	s_waitcnt vmcnt(9)
	v_add_f32_e32 v33, v33, v14
	;; [unrolled: 3-line block ×6, first 2 shown]
	v_add_f32_e32 v34, v34, v29
	v_sub_f32_e32 v35, v30, v32
	v_add_f32_e32 v30, v33, v32
	v_sub_f32_e32 v4, v29, v31
	v_add_f32_e32 v29, v29, v31
	v_add_f32_e32 v31, v34, v31
	s_waitcnt vmcnt(4)
	v_sub_f32_e32 v32, v23, v27
	v_add_f32_e32 v34, v23, v27
	v_add_f32_e32 v23, v28, v30
	v_add_f32_e32 v33, v24, v28
	v_sub_f32_e32 v36, v24, v28
	v_add_f32_e32 v24, v27, v31
	s_waitcnt vmcnt(3)
	v_sub_f32_e32 v27, v15, v25
	v_add_f32_e32 v28, v15, v25
	v_add_f32_e32 v15, v26, v23
	;; [unrolled: 1-line block ×3, first 2 shown]
	v_sub_f32_e32 v38, v16, v26
	v_add_f32_e32 v16, v25, v24
	s_waitcnt vmcnt(2)
	v_sub_f32_e32 v30, v13, v21
	v_add_f32_e32 v31, v13, v21
	v_add_f32_e32 v13, v22, v15
	s_waitcnt vmcnt(0)
	v_sub_f32_e32 v46, v9, v17
	v_add_f32_e32 v39, v14, v22
	v_sub_f32_e32 v40, v14, v22
	v_add_f32_e32 v14, v21, v16
	;; [unrolled: 2-line block ×3, first 2 shown]
	v_add_f32_e32 v11, v20, v13
	v_add_f32_e32 v45, v10, v18
	v_mul_f32_e32 v23, 0xbf7e222b, v46
	s_mov_b32 s3, 0x3df6dbef
	v_add_f32_e32 v41, v12, v20
	v_sub_f32_e32 v44, v12, v20
	v_add_f32_e32 v12, v19, v14
	v_sub_f32_e32 v48, v10, v18
	v_add_f32_e32 v10, v18, v11
	v_fma_f32 v11, v45, s3, -v23
	s_mov_b32 s2, 0xbf788fa5
	v_mul_f32_e32 v24, 0xbe750f2a, v42
	v_add_f32_e32 v47, v9, v17
	v_add_f32_e32 v9, v17, v12
	;; [unrolled: 1-line block ×3, first 2 shown]
	v_fma_f32 v12, v41, s2, -v24
	s_mov_b32 s8, 0xbeb58ec6
	v_mul_f32_e32 v25, 0x3f6f5d39, v30
	v_add_f32_e32 v11, v11, v12
	v_fma_f32 v12, v39, s8, -v25
	s_mov_b32 s14, 0x3f62ad3f
	v_mul_f32_e32 v26, 0x3eedf032, v27
	v_add_f32_e32 v11, v12, v11
	;; [unrolled: 4-line block ×3, first 2 shown]
	v_fma_f32 v12, v33, s9, -v49
	v_mul_f32_e32 v50, 0xbf7e222b, v48
	v_add_f32_e32 v11, v12, v11
	v_mov_b32_e32 v12, v50
	v_mul_f32_e32 v51, 0xbe750f2a, v44
	v_fmac_f32_e32 v12, 0x3df6dbef, v47
	v_mov_b32_e32 v13, v51
	v_add_f32_e32 v12, v7, v12
	v_fmac_f32_e32 v13, 0xbf788fa5, v43
	v_mul_f32_e32 v52, 0x3f6f5d39, v40
	v_add_f32_e32 v12, v12, v13
	v_mov_b32_e32 v13, v52
	v_fmac_f32_e32 v13, 0xbeb58ec6, v31
	v_mul_f32_e32 v53, 0x3eedf032, v38
	v_add_f32_e32 v12, v13, v12
	v_mov_b32_e32 v13, v53
	;; [unrolled: 4-line block ×3, first 2 shown]
	v_fmac_f32_e32 v13, 0x3f116cb1, v34
	s_mov_b32 s15, 0xbf3f9e67
	v_mul_f32_e32 v55, 0xbf29c268, v4
	v_add_f32_e32 v13, v13, v12
	v_fma_f32 v12, v0, s15, -v55
	v_mul_f32_e32 v56, 0xbf29c268, v35
	v_add_f32_e32 v12, v12, v11
	v_mov_b32_e32 v11, v56
	v_fmac_f32_e32 v11, 0xbf3f9e67, v29
	v_mul_f32_e32 v21, 0xbf6f5d39, v46
	v_add_f32_e32 v11, v11, v13
	v_fma_f32 v13, v45, s8, -v21
	v_mul_f32_e32 v22, 0x3f29c268, v42
	v_add_f32_e32 v13, v8, v13
	v_fma_f32 v14, v41, s15, -v22
	;; [unrolled: 3-line block ×5, first 2 shown]
	v_mul_f32_e32 v60, 0xbf6f5d39, v48
	v_fmac_f32_e32 v23, 0x3df6dbef, v45
	v_add_f32_e32 v13, v14, v13
	v_mov_b32_e32 v14, v60
	v_mul_f32_e32 v61, 0x3f29c268, v44
	v_add_f32_e32 v23, v8, v23
	v_fmac_f32_e32 v24, 0xbf788fa5, v41
	v_fmac_f32_e32 v14, 0xbeb58ec6, v47
	v_mov_b32_e32 v15, v61
	v_add_f32_e32 v23, v23, v24
	v_fmac_f32_e32 v25, 0xbeb58ec6, v39
	v_fma_f32 v24, v47, s3, -v50
	v_add_f32_e32 v14, v7, v14
	v_fmac_f32_e32 v15, 0xbf3f9e67, v43
	v_mul_f32_e32 v62, 0x3eedf032, v40
	v_add_f32_e32 v23, v25, v23
	v_add_f32_e32 v24, v7, v24
	v_fma_f32 v25, v43, s2, -v51
	v_add_f32_e32 v14, v14, v15
	v_mov_b32_e32 v15, v62
	v_fmac_f32_e32 v26, 0x3f62ad3f, v37
	v_add_f32_e32 v24, v24, v25
	v_fma_f32 v25, v31, s8, -v52
	v_fmac_f32_e32 v15, 0x3f62ad3f, v31
	v_mul_f32_e32 v63, 0xbf7e222b, v38
	v_add_f32_e32 v23, v26, v23
	v_fmac_f32_e32 v49, 0x3f116cb1, v33
	v_add_f32_e32 v24, v25, v24
	v_fma_f32 v25, v28, s14, -v53
	v_add_f32_e32 v14, v15, v14
	v_mov_b32_e32 v15, v63
	v_add_f32_e32 v23, v49, v23
	v_add_f32_e32 v24, v25, v24
	v_fma_f32 v25, v34, s9, -v54
	v_fmac_f32_e32 v55, 0xbf3f9e67, v0
	v_fmac_f32_e32 v15, 0x3df6dbef, v28
	v_mul_f32_e32 v64, 0x3e750f2a, v36
	v_add_f32_e32 v25, v25, v24
	v_add_f32_e32 v24, v55, v23
	v_fma_f32 v23, v29, s15, -v56
	v_mul_f32_e32 v49, 0xbf52af12, v46
	v_add_f32_e32 v14, v15, v14
	v_mov_b32_e32 v15, v64
	v_add_f32_e32 v23, v23, v25
	v_mov_b32_e32 v25, v49
	v_mul_f32_e32 v50, 0xbf6f5d39, v42
	v_fmac_f32_e32 v15, 0xbf788fa5, v34
	v_mul_f32_e32 v65, 0x3f52af12, v4
	v_fmac_f32_e32 v25, 0x3f116cb1, v45
	v_mov_b32_e32 v26, v50
	v_add_f32_e32 v15, v15, v14
	v_fma_f32 v14, v0, s9, -v65
	v_mul_f32_e32 v66, 0x3f52af12, v35
	v_add_f32_e32 v25, v8, v25
	v_fmac_f32_e32 v26, 0xbeb58ec6, v41
	v_mul_f32_e32 v51, 0xbe750f2a, v30
	v_add_f32_e32 v14, v14, v13
	v_mov_b32_e32 v13, v66
	v_add_f32_e32 v25, v25, v26
	v_mov_b32_e32 v26, v51
	v_fmac_f32_e32 v13, 0x3f116cb1, v29
	v_mul_f32_e32 v19, 0xbf29c268, v46
	v_fmac_f32_e32 v26, 0xbf788fa5, v39
	v_mul_f32_e32 v52, 0x3f29c268, v27
	v_add_f32_e32 v13, v13, v15
	v_fma_f32 v15, v45, s15, -v19
	v_mul_f32_e32 v20, 0x3f7e222b, v42
	v_fmac_f32_e32 v21, 0xbeb58ec6, v45
	v_add_f32_e32 v25, v26, v25
	v_mov_b32_e32 v26, v52
	v_add_f32_e32 v15, v8, v15
	v_fma_f32 v16, v41, s3, -v20
	v_mul_f32_e32 v67, 0xbf52af12, v30
	v_add_f32_e32 v21, v8, v21
	v_fmac_f32_e32 v22, 0xbf3f9e67, v41
	v_fmac_f32_e32 v26, 0xbf3f9e67, v37
	v_mul_f32_e32 v53, 0x3f7e222b, v32
	v_add_f32_e32 v15, v15, v16
	v_fma_f32 v16, v39, s9, -v67
	v_mul_f32_e32 v68, 0x3e750f2a, v27
	v_add_f32_e32 v21, v21, v22
	v_fmac_f32_e32 v57, 0x3f62ad3f, v39
	v_fma_f32 v22, v47, s8, -v60
	v_add_f32_e32 v25, v26, v25
	v_mov_b32_e32 v26, v53
	v_add_f32_e32 v15, v16, v15
	v_fma_f32 v16, v37, s2, -v68
	v_mul_f32_e32 v69, 0x3eedf032, v32
	v_add_f32_e32 v21, v57, v21
	v_add_f32_e32 v22, v7, v22
	v_fma_f32 v57, v43, s15, -v61
	v_fmac_f32_e32 v26, 0x3df6dbef, v33
	v_mul_f32_e32 v54, 0x3f116cb1, v47
	v_add_f32_e32 v15, v16, v15
	v_fma_f32 v16, v33, s14, -v69
	v_mul_f32_e32 v70, 0xbf29c268, v48
	v_fmac_f32_e32 v58, 0x3df6dbef, v37
	v_add_f32_e32 v22, v22, v57
	v_fma_f32 v57, v31, s14, -v62
	v_add_f32_e32 v25, v26, v25
	v_mov_b32_e32 v26, v54
	v_mul_f32_e32 v55, 0xbeb58ec6, v43
	v_add_f32_e32 v15, v16, v15
	v_mov_b32_e32 v16, v70
	v_mul_f32_e32 v71, 0x3f7e222b, v44
	v_add_f32_e32 v21, v58, v21
	v_fmac_f32_e32 v59, 0xbf788fa5, v33
	v_add_f32_e32 v22, v57, v22
	v_fma_f32 v57, v28, s3, -v63
	v_fmac_f32_e32 v26, 0x3f52af12, v48
	v_mov_b32_e32 v56, v55
	v_fmac_f32_e32 v16, 0xbf3f9e67, v47
	v_mov_b32_e32 v17, v71
	v_add_f32_e32 v21, v59, v21
	v_add_f32_e32 v22, v57, v22
	v_fma_f32 v57, v34, s2, -v64
	v_fmac_f32_e32 v65, 0x3f116cb1, v0
	v_add_f32_e32 v26, v7, v26
	v_fmac_f32_e32 v56, 0x3f6f5d39, v44
	v_add_f32_e32 v16, v7, v16
	v_fmac_f32_e32 v17, 0x3df6dbef, v43
	v_mul_f32_e32 v72, 0xbf52af12, v40
	v_add_f32_e32 v57, v57, v22
	v_add_f32_e32 v22, v65, v21
	v_fma_f32 v21, v29, s9, -v66
	v_add_f32_e32 v26, v26, v56
	v_mul_f32_e32 v56, 0xbf788fa5, v31
	v_add_f32_e32 v16, v16, v17
	v_mov_b32_e32 v17, v72
	v_add_f32_e32 v21, v21, v57
	v_mov_b32_e32 v57, v56
	v_fmac_f32_e32 v17, 0x3f116cb1, v31
	v_mul_f32_e32 v73, 0x3e750f2a, v38
	v_fmac_f32_e32 v57, 0x3e750f2a, v40
	v_add_f32_e32 v16, v17, v16
	v_mov_b32_e32 v17, v73
	v_add_f32_e32 v26, v57, v26
	v_mul_f32_e32 v57, 0xbf3f9e67, v28
	v_fmac_f32_e32 v17, 0xbf788fa5, v28
	v_mul_f32_e32 v74, 0x3eedf032, v36
	v_mov_b32_e32 v58, v57
	v_add_f32_e32 v16, v17, v16
	v_mov_b32_e32 v17, v74
	v_fmac_f32_e32 v58, 0xbf29c268, v38
	v_fmac_f32_e32 v17, 0x3f62ad3f, v34
	v_mul_f32_e32 v75, 0xbf6f5d39, v4
	v_add_f32_e32 v26, v58, v26
	v_mul_f32_e32 v58, 0x3df6dbef, v34
	v_add_f32_e32 v17, v17, v16
	v_fma_f32 v16, v0, s8, -v75
	v_mul_f32_e32 v76, 0xbf6f5d39, v35
	v_mov_b32_e32 v59, v58
	v_add_f32_e32 v16, v16, v15
	v_mov_b32_e32 v15, v76
	v_fmac_f32_e32 v59, 0xbf7e222b, v36
	v_mul_f32_e32 v60, 0x3eedf032, v4
	v_fmac_f32_e32 v15, 0xbeb58ec6, v29
	v_mul_f32_e32 v77, 0xbe750f2a, v46
	v_add_f32_e32 v59, v59, v26
	v_mov_b32_e32 v26, v60
	v_add_f32_e32 v15, v15, v17
	v_mov_b32_e32 v17, v77
	v_mul_f32_e32 v78, 0x3eedf032, v42
	v_fmac_f32_e32 v26, 0x3f62ad3f, v0
	v_mul_f32_e32 v61, 0x3f62ad3f, v29
	v_fmac_f32_e32 v17, 0xbf788fa5, v45
	v_mov_b32_e32 v18, v78
	v_add_f32_e32 v26, v26, v25
	v_mov_b32_e32 v25, v61
	v_add_f32_e32 v17, v8, v17
	v_fmac_f32_e32 v18, 0x3f62ad3f, v41
	v_mul_f32_e32 v79, 0xbf29c268, v30
	v_fmac_f32_e32 v25, 0xbeedf032, v35
	v_mul_f32_e32 v46, 0xbeedf032, v46
	v_add_f32_e32 v17, v17, v18
	v_mov_b32_e32 v18, v79
	v_add_f32_e32 v25, v25, v59
	v_mov_b32_e32 v59, v46
	v_mul_f32_e32 v42, 0xbf52af12, v42
	v_fmac_f32_e32 v18, 0xbf3f9e67, v39
	v_mul_f32_e32 v80, 0x3f52af12, v27
	v_fmac_f32_e32 v59, 0x3f62ad3f, v45
	v_mov_b32_e32 v62, v42
	v_add_f32_e32 v17, v18, v17
	v_mov_b32_e32 v18, v80
	v_add_f32_e32 v59, v8, v59
	v_fmac_f32_e32 v62, 0x3f116cb1, v41
	v_fmac_f32_e32 v18, 0x3f116cb1, v37
	v_mul_f32_e32 v81, 0xbf6f5d39, v32
	v_add_f32_e32 v59, v59, v62
	v_mul_f32_e32 v62, 0xbf7e222b, v30
	v_add_f32_e32 v17, v18, v17
	v_mov_b32_e32 v18, v81
	v_mov_b32_e32 v30, v62
	v_fmac_f32_e32 v18, 0xbeb58ec6, v33
	v_mul_f32_e32 v82, 0xbf788fa5, v47
	v_fmac_f32_e32 v30, 0x3df6dbef, v39
	v_add_f32_e32 v17, v18, v17
	v_mov_b32_e32 v18, v82
	v_mul_f32_e32 v83, 0x3f62ad3f, v43
	v_add_f32_e32 v30, v30, v59
	v_mul_f32_e32 v59, 0xbf6f5d39, v27
	v_fmac_f32_e32 v18, 0x3e750f2a, v48
	v_mov_b32_e32 v84, v83
	v_mov_b32_e32 v27, v59
	v_add_f32_e32 v18, v7, v18
	v_fmac_f32_e32 v84, 0xbeedf032, v44
	v_fmac_f32_e32 v19, 0xbf3f9e67, v45
	;; [unrolled: 1-line block ×3, first 2 shown]
	v_mul_f32_e32 v63, 0xbf29c268, v32
	v_add_f32_e32 v18, v18, v84
	v_mul_f32_e32 v84, 0xbf3f9e67, v31
	v_add_f32_e32 v19, v8, v19
	v_fmac_f32_e32 v20, 0x3df6dbef, v41
	v_add_f32_e32 v27, v27, v30
	v_mov_b32_e32 v30, v63
	v_mov_b32_e32 v85, v84
	v_add_f32_e32 v19, v19, v20
	v_fmac_f32_e32 v67, 0x3f116cb1, v39
	v_fma_f32 v20, v47, s15, -v70
	v_fmac_f32_e32 v30, 0xbf3f9e67, v33
	v_mul_f32_e32 v47, 0x3f62ad3f, v47
	v_fmac_f32_e32 v85, 0x3f29c268, v40
	v_add_f32_e32 v19, v67, v19
	v_fma_f32 v67, v43, s3, -v71
	v_add_f32_e32 v27, v30, v27
	v_mov_b32_e32 v30, v47
	v_mul_f32_e32 v43, 0x3f116cb1, v43
	v_add_f32_e32 v18, v85, v18
	v_mul_f32_e32 v85, 0x3f116cb1, v28
	v_add_f32_e32 v20, v7, v20
	v_fmac_f32_e32 v30, 0x3eedf032, v48
	v_mov_b32_e32 v32, v43
	v_mul_f32_e32 v64, 0x3df6dbef, v31
	v_mov_b32_e32 v86, v85
	v_add_f32_e32 v20, v20, v67
	v_fma_f32 v67, v31, s9, -v72
	v_add_f32_e32 v30, v7, v30
	v_fmac_f32_e32 v32, 0x3f52af12, v44
	v_mov_b32_e32 v31, v64
	v_mul_f32_e32 v65, 0xbeb58ec6, v28
	v_fmac_f32_e32 v86, 0xbf52af12, v38
	v_add_f32_e32 v20, v67, v20
	v_fma_f32 v67, v28, s2, -v73
	v_add_f32_e32 v30, v30, v32
	v_fmac_f32_e32 v31, 0x3f7e222b, v40
	v_mov_b32_e32 v28, v65
	v_add_f32_e32 v18, v86, v18
	v_mul_f32_e32 v86, 0xbeb58ec6, v34
	v_add_f32_e32 v20, v67, v20
	v_fma_f32 v67, v34, s14, -v74
	v_add_f32_e32 v30, v31, v30
	v_fmac_f32_e32 v28, 0x3f6f5d39, v38
	v_mul_f32_e32 v34, 0xbf3f9e67, v34
	v_add_f32_e32 v28, v28, v30
	v_mov_b32_e32 v30, v34
	v_mul_f32_e32 v88, 0x3f7e222b, v4
	v_fmac_f32_e32 v30, 0x3f29c268, v36
	v_mul_f32_e32 v4, 0xbe750f2a, v4
	v_fmac_f32_e32 v68, 0xbf788fa5, v37
	v_add_f32_e32 v30, v30, v28
	v_mov_b32_e32 v28, v4
	v_add_f32_e32 v19, v68, v19
	v_fmac_f32_e32 v69, 0x3f62ad3f, v33
	v_fmac_f32_e32 v28, 0xbf788fa5, v0
	v_mul_f32_e32 v66, 0xbf788fa5, v29
	v_add_f32_e32 v19, v69, v19
	v_fmac_f32_e32 v75, 0xbeb58ec6, v0
	v_add_f32_e32 v28, v28, v27
	v_mov_b32_e32 v27, v66
	v_mul_f32_e32 v89, 0x3df6dbef, v29
	v_add_f32_e32 v67, v67, v20
	v_add_f32_e32 v20, v75, v19
	v_fma_f32 v19, v29, s8, -v76
	v_fmac_f32_e32 v27, 0x3e750f2a, v35
	v_fma_f32 v29, v45, s2, -v77
	v_add_f32_e32 v27, v27, v30
	v_add_f32_e32 v29, v8, v29
	v_fma_f32 v30, v41, s14, -v78
	v_add_f32_e32 v29, v29, v30
	v_fma_f32 v30, v39, s15, -v79
	;; [unrolled: 2-line block ×4, first 2 shown]
	v_fmac_f32_e32 v82, 0xbe750f2a, v48
	v_mov_b32_e32 v87, v86
	v_add_f32_e32 v29, v30, v29
	v_add_f32_e32 v30, v7, v82
	v_fmac_f32_e32 v83, 0x3eedf032, v44
	v_fmac_f32_e32 v87, 0x3f6f5d39, v36
	v_add_f32_e32 v30, v30, v83
	v_fmac_f32_e32 v84, 0xbf29c268, v40
	v_add_f32_e32 v87, v87, v18
	v_mov_b32_e32 v18, v88
	v_add_f32_e32 v30, v84, v30
	v_fmac_f32_e32 v85, 0x3f52af12, v38
	v_fmac_f32_e32 v18, 0x3df6dbef, v0
	v_add_f32_e32 v30, v85, v30
	v_fmac_f32_e32 v86, 0xbf6f5d39, v36
	v_add_f32_e32 v18, v18, v17
	v_mov_b32_e32 v17, v89
	v_add_f32_e32 v31, v86, v30
	v_fma_f32 v30, v0, s3, -v88
	v_fmac_f32_e32 v89, 0x3f7e222b, v35
	v_add_f32_e32 v30, v30, v29
	v_add_f32_e32 v29, v89, v31
	v_fma_f32 v31, v45, s9, -v49
	v_add_f32_e32 v31, v8, v31
	v_fma_f32 v32, v41, s8, -v50
	v_add_f32_e32 v31, v31, v32
	v_fma_f32 v32, v39, s2, -v51
	v_add_f32_e32 v31, v32, v31
	v_fma_f32 v32, v37, s15, -v52
	v_add_f32_e32 v31, v32, v31
	v_fma_f32 v32, v33, s3, -v53
	v_fmac_f32_e32 v54, 0xbf52af12, v48
	v_add_f32_e32 v31, v32, v31
	v_add_f32_e32 v32, v7, v54
	v_fmac_f32_e32 v55, 0xbf6f5d39, v44
	v_add_f32_e32 v32, v32, v55
	v_fmac_f32_e32 v56, 0xbe750f2a, v40
	v_fma_f32 v45, v45, s14, -v46
	v_add_f32_e32 v32, v56, v32
	v_fmac_f32_e32 v57, 0x3f29c268, v38
	v_fmac_f32_e32 v47, 0xbeedf032, v48
	v_add_f32_e32 v8, v8, v45
	v_fma_f32 v41, v41, s9, -v42
	v_add_f32_e32 v32, v57, v32
	v_fmac_f32_e32 v58, 0x3f7e222b, v36
	v_add_f32_e32 v7, v7, v47
	v_add_f32_e32 v8, v8, v41
	v_fma_f32 v39, v39, s3, -v62
	v_fmac_f32_e32 v43, 0xbf52af12, v44
	v_add_f32_e32 v49, v58, v32
	v_fma_f32 v32, v0, s14, -v60
	v_add_f32_e32 v8, v39, v8
	v_fma_f32 v37, v37, s8, -v59
	v_fma_f32 v0, v0, s2, -v4
	v_add_f32_e32 v4, v7, v43
	v_fmac_f32_e32 v64, 0xbf7e222b, v40
	v_add_f32_e32 v8, v37, v8
	v_fma_f32 v33, v33, s15, -v63
	v_add_f32_e32 v4, v64, v4
	v_fmac_f32_e32 v65, 0xbf6f5d39, v38
	v_add_f32_e32 v8, v33, v8
	v_add_f32_e32 v4, v65, v4
	v_fmac_f32_e32 v34, 0xbf29c268, v36
	v_add_f32_e32 v8, v0, v8
	v_add_f32_e32 v0, v34, v4
	v_fmac_f32_e32 v66, 0xbe750f2a, v35
	s_movk_i32 s2, 0x68
	v_fmac_f32_e32 v17, 0xbf7e222b, v35
	v_fmac_f32_e32 v61, 0x3eedf032, v35
	v_add_f32_e32 v7, v66, v0
	v_mad_u32_u24 v0, v3, s2, 0
	v_add_f32_e32 v17, v17, v87
	v_add_f32_e32 v19, v19, v67
	;; [unrolled: 1-line block ×4, first 2 shown]
	ds_write2_b64 v0, v[9:10], v[27:28] offset1:1
	ds_write2_b64 v0, v[25:26], v[23:24] offset0:2 offset1:3
	ds_write2_b64 v0, v[21:22], v[19:20] offset0:4 offset1:5
	;; [unrolled: 1-line block ×5, first 2 shown]
	ds_write_b64 v0, v[7:8] offset:96
.LBB0_13:
	s_or_b64 exec, exec, s[6:7]
	s_load_dwordx2 s[2:3], s[4:5], 0x0
	s_movk_i32 s4, 0x4f
	v_mul_lo_u16_sdwa v0, v3, s4 dst_sel:DWORD dst_unused:UNUSED_PAD src0_sel:BYTE_0 src1_sel:DWORD
	v_lshrrev_b16_e32 v4, 10, v0
	v_mul_lo_u16_e32 v0, 13, v4
	v_sub_u16_e32 v51, v3, v0
	v_mov_b32_e32 v52, 3
	v_mul_u32_u24_sdwa v0, v51, v52 dst_sel:DWORD dst_unused:UNUSED_PAD src0_sel:BYTE_0 src1_sel:DWORD
	v_lshlrev_b32_e32 v0, 3, v0
	s_waitcnt lgkmcnt(0)
	; wave barrier
	s_waitcnt lgkmcnt(0)
	global_load_dwordx2 v[45:46], v0, s[12:13] offset:16
	global_load_dwordx4 v[9:12], v0, s[12:13]
	v_add_u16_e32 v0, 52, v3
	s_waitcnt vmcnt(14)
	v_mul_lo_u16_sdwa v7, v0, s4 dst_sel:DWORD dst_unused:UNUSED_PAD src0_sel:BYTE_0 src1_sel:DWORD
	v_lshrrev_b16_e32 v53, 10, v7
	v_mul_lo_u16_e32 v7, 13, v53
	v_sub_u16_e32 v54, v0, v7
	v_mul_u32_u24_sdwa v0, v54, v52 dst_sel:DWORD dst_unused:UNUSED_PAD src0_sel:BYTE_0 src1_sel:DWORD
	v_lshlrev_b32_e32 v0, 3, v0
	global_load_dwordx2 v[47:48], v0, s[12:13] offset:16
	global_load_dwordx4 v[13:16], v0, s[12:13]
	v_add_u16_e32 v0, 0x68, v3
	v_mul_lo_u16_sdwa v7, v0, s4 dst_sel:DWORD dst_unused:UNUSED_PAD src0_sel:BYTE_0 src1_sel:DWORD
	v_lshrrev_b16_e32 v55, 10, v7
	v_mul_lo_u16_e32 v7, 13, v55
	v_sub_u16_e32 v56, v0, v7
	v_mul_u32_u24_sdwa v0, v56, v52 dst_sel:DWORD dst_unused:UNUSED_PAD src0_sel:BYTE_0 src1_sel:DWORD
	v_lshlrev_b32_e32 v0, 3, v0
	global_load_dwordx4 v[17:20], v0, s[12:13]
	global_load_dwordx2 v[49:50], v0, s[12:13] offset:16
	v_lshl_add_u32 v0, v3, 3, 0
	s_waitcnt vmcnt(8)
	ds_read2_b64 v[21:24], v0 offset1:52
	ds_read2_b64 v[25:28], v0 offset0:104 offset1:156
	v_add_u32_e32 v7, 0x800, v0
	v_add_u32_e32 v57, 0x400, v0
	;; [unrolled: 1-line block ×3, first 2 shown]
	ds_read2_b64 v[29:32], v7 offset0:56 offset1:108
	ds_read2_b64 v[33:36], v7 offset0:160 offset1:212
	;; [unrolled: 1-line block ×4, first 2 shown]
	v_mul_u32_u24_e32 v4, 0x1a0, v4
	s_waitcnt lgkmcnt(0)
	; wave barrier
	s_waitcnt vmcnt(5) lgkmcnt(0)
	v_mul_f32_e32 v60, v46, v36
	s_waitcnt vmcnt(4)
	v_mul_f32_e32 v58, v10, v28
	v_mul_f32_e32 v10, v10, v27
	;; [unrolled: 1-line block ×5, first 2 shown]
	v_fma_f32 v27, v9, v27, -v58
	v_fmac_f32_e32 v10, v9, v28
	v_fma_f32 v9, v11, v29, -v59
	s_waitcnt vmcnt(2)
	v_mul_f32_e32 v61, v14, v38
	v_mul_f32_e32 v62, v14, v37
	;; [unrolled: 1-line block ×3, first 2 shown]
	v_fmac_f32_e32 v12, v11, v30
	v_fma_f32 v11, v45, v35, -v60
	v_fmac_f32_e32 v46, v45, v36
	v_mul_f32_e32 v63, v16, v31
	v_mul_f32_e32 v16, v42, v48
	;; [unrolled: 1-line block ×3, first 2 shown]
	s_waitcnt vmcnt(1)
	v_mul_f32_e32 v64, v40, v18
	v_mul_f32_e32 v65, v39, v18
	v_mul_f32_e32 v18, v34, v20
	v_mul_f32_e32 v66, v33, v20
	s_waitcnt vmcnt(0)
	v_mul_f32_e32 v20, v44, v50
	v_fma_f32 v28, v13, v37, -v61
	v_fmac_f32_e32 v62, v13, v38
	v_fma_f32 v29, v15, v31, -v14
	v_sub_f32_e32 v13, v21, v9
	v_sub_f32_e32 v14, v22, v12
	;; [unrolled: 1-line block ×4, first 2 shown]
	v_fmac_f32_e32 v63, v15, v32
	v_fma_f32 v30, v41, v47, -v16
	v_fmac_f32_e32 v48, v42, v47
	v_fma_f32 v31, v39, v17, -v64
	v_fmac_f32_e32 v65, v40, v17
	v_fma_f32 v32, v33, v19, -v18
	v_fma_f32 v33, v43, v49, -v20
	v_fma_f32 v15, v21, 2.0, -v13
	v_fma_f32 v16, v22, 2.0, -v14
	;; [unrolled: 1-line block ×4, first 2 shown]
	v_mul_f32_e32 v50, v43, v50
	v_sub_f32_e32 v9, v13, v9
	v_add_f32_e32 v10, v14, v11
	v_sub_f32_e32 v11, v15, v12
	v_sub_f32_e32 v12, v16, v17
	;; [unrolled: 1-line block ×7, first 2 shown]
	v_lshlrev_b32_sdwa v33, v52, v51 dst_sel:DWORD dst_unused:UNUSED_PAD src0_sel:DWORD src1_sel:BYTE_0
	v_fmac_f32_e32 v66, v34, v19
	v_fmac_f32_e32 v50, v44, v49
	v_fma_f32 v13, v13, 2.0, -v9
	v_fma_f32 v14, v14, 2.0, -v10
	;; [unrolled: 1-line block ×8, first 2 shown]
	v_add_f32_e32 v22, v29, v22
	v_add3_u32 v4, 0, v4, v33
	v_sub_f32_e32 v17, v19, v17
	v_sub_f32_e32 v18, v20, v18
	;; [unrolled: 1-line block ×3, first 2 shown]
	v_fma_f32 v24, v29, 2.0, -v22
	v_sub_f32_e32 v32, v25, v32
	v_sub_f32_e32 v34, v26, v66
	;; [unrolled: 1-line block ×3, first 2 shown]
	ds_write2_b64 v4, v[15:16], v[13:14] offset1:13
	ds_write2_b64 v4, v[11:12], v[9:10] offset0:26 offset1:39
	v_mul_u32_u24_e32 v4, 0x1a0, v53
	v_lshlrev_b32_sdwa v9, v52, v54 dst_sel:DWORD dst_unused:UNUSED_PAD src0_sel:DWORD src1_sel:BYTE_0
	v_fma_f32 v19, v19, 2.0, -v17
	v_fma_f32 v20, v20, 2.0, -v18
	;; [unrolled: 1-line block ×7, first 2 shown]
	v_add3_u32 v4, 0, v4, v9
	v_sub_f32_e32 v25, v27, v25
	v_sub_f32_e32 v26, v28, v26
	;; [unrolled: 1-line block ×3, first 2 shown]
	v_add_f32_e32 v30, v34, v30
	ds_write2_b64 v4, v[19:20], v[23:24] offset1:13
	ds_write2_b64 v4, v[17:18], v[21:22] offset0:26 offset1:39
	v_mul_u32_u24_e32 v4, 0x1a0, v55
	v_lshlrev_b32_sdwa v9, v52, v56 dst_sel:DWORD dst_unused:UNUSED_PAD src0_sel:DWORD src1_sel:BYTE_0
	v_fma_f32 v27, v27, 2.0, -v25
	v_fma_f32 v28, v28, 2.0, -v26
	;; [unrolled: 1-line block ×4, first 2 shown]
	v_add3_u32 v4, 0, v4, v9
	ds_write2_b64 v4, v[27:28], v[31:32] offset1:13
	ds_write2_b64 v4, v[25:26], v[29:30] offset0:26 offset1:39
	v_mul_u32_u24_e32 v4, 5, v3
	v_lshlrev_b32_e32 v4, 3, v4
	s_waitcnt lgkmcnt(0)
	; wave barrier
	s_waitcnt lgkmcnt(0)
	global_load_dwordx4 v[9:12], v4, s[12:13] offset:312
	global_load_dwordx4 v[13:16], v4, s[12:13] offset:328
	global_load_dwordx2 v[41:42], v4, s[12:13] offset:344
	ds_read2_b64 v[17:20], v0 offset1:52
	ds_read2_b64 v[21:24], v0 offset0:104 offset1:156
	ds_read2_b64 v[25:28], v57 offset0:80 offset1:132
	;; [unrolled: 1-line block ×5, first 2 shown]
	s_waitcnt lgkmcnt(0)
	; wave barrier
	s_waitcnt vmcnt(2) lgkmcnt(0)
	v_mul_f32_e32 v43, v10, v21
	s_waitcnt vmcnt(1)
	v_mul_f32_e32 v46, v14, v30
	v_mul_f32_e32 v47, v14, v29
	;; [unrolled: 1-line block ×3, first 2 shown]
	v_fmac_f32_e32 v43, v9, v22
	v_fma_f32 v22, v13, v29, -v46
	v_fmac_f32_e32 v47, v13, v30
	v_mul_f32_e32 v29, v24, v10
	v_mul_f32_e32 v30, v23, v10
	v_fma_f32 v4, v9, v21, -v4
	v_fma_f32 v29, v23, v9, -v29
	v_fmac_f32_e32 v30, v24, v9
	v_mul_f32_e32 v9, v28, v12
	v_fma_f32 v23, v27, v11, -v9
	v_mul_f32_e32 v9, v32, v14
	v_mul_f32_e32 v44, v12, v26
	;; [unrolled: 1-line block ×3, first 2 shown]
	v_fma_f32 v27, v31, v13, -v9
	v_mul_f32_e32 v9, v36, v16
	v_mul_f32_e32 v48, v16, v34
	v_fma_f32 v21, v11, v25, -v44
	v_fmac_f32_e32 v24, v28, v11
	v_mul_f32_e32 v28, v31, v14
	v_fma_f32 v31, v35, v15, -v9
	s_waitcnt vmcnt(0)
	v_mul_f32_e32 v9, v40, v42
	v_mul_f32_e32 v45, v12, v25
	;; [unrolled: 1-line block ×3, first 2 shown]
	v_fma_f32 v25, v15, v33, -v48
	v_fmac_f32_e32 v28, v32, v13
	v_mul_f32_e32 v32, v35, v16
	v_fma_f32 v33, v39, v41, -v9
	v_add_f32_e32 v9, v17, v21
	v_fmac_f32_e32 v49, v15, v34
	v_fmac_f32_e32 v32, v36, v15
	v_add_f32_e32 v15, v9, v25
	v_add_f32_e32 v9, v21, v25
	v_fmac_f32_e32 v45, v11, v26
	v_fma_f32 v16, -0.5, v9, v17
	v_sub_f32_e32 v9, v45, v49
	v_mov_b32_e32 v17, v16
	v_fmac_f32_e32 v17, 0x3f5db3d7, v9
	v_fmac_f32_e32 v16, 0xbf5db3d7, v9
	v_add_f32_e32 v9, v18, v45
	v_add_f32_e32 v35, v9, v49
	;; [unrolled: 1-line block ×3, first 2 shown]
	v_fma_f32 v36, -0.5, v9, v18
	v_mul_f32_e32 v50, v42, v38
	v_sub_f32_e32 v9, v21, v25
	v_mov_b32_e32 v18, v36
	v_fma_f32 v26, v41, v37, -v50
	v_fmac_f32_e32 v18, 0xbf5db3d7, v9
	v_fmac_f32_e32 v36, 0x3f5db3d7, v9
	v_add_f32_e32 v9, v4, v22
	v_mul_f32_e32 v51, v42, v37
	v_add_f32_e32 v21, v9, v26
	v_add_f32_e32 v9, v22, v26
	v_fmac_f32_e32 v51, v41, v38
	v_fmac_f32_e32 v4, -0.5, v9
	v_sub_f32_e32 v9, v47, v51
	v_mov_b32_e32 v12, v4
	v_fmac_f32_e32 v12, 0x3f5db3d7, v9
	v_fmac_f32_e32 v4, 0xbf5db3d7, v9
	v_add_f32_e32 v9, v43, v47
	v_add_f32_e32 v25, v9, v51
	;; [unrolled: 1-line block ×3, first 2 shown]
	v_fmac_f32_e32 v43, -0.5, v9
	v_sub_f32_e32 v9, v22, v26
	v_mov_b32_e32 v14, v43
	v_fmac_f32_e32 v43, 0x3f5db3d7, v9
	v_mul_f32_e32 v26, -0.5, v4
	v_fmac_f32_e32 v26, 0x3f5db3d7, v43
	v_fmac_f32_e32 v14, 0xbf5db3d7, v9
	v_add_f32_e32 v9, v15, v21
	v_add_f32_e32 v13, v16, v26
	;; [unrolled: 1-line block ×3, first 2 shown]
	v_mul_f32_e32 v38, -0.5, v43
	v_sub_f32_e32 v15, v15, v21
	v_sub_f32_e32 v21, v16, v26
	v_sub_f32_e32 v16, v35, v25
	v_add_f32_e32 v25, v23, v31
	v_fmac_f32_e32 v38, 0xbf5db3d7, v4
	v_add_f32_e32 v4, v19, v23
	v_fma_f32 v19, -0.5, v25, v19
	v_sub_f32_e32 v25, v24, v32
	v_mov_b32_e32 v35, v19
	v_mul_f32_e32 v22, 0x3f5db3d7, v14
	v_fmac_f32_e32 v35, 0x3f5db3d7, v25
	v_fmac_f32_e32 v19, 0xbf5db3d7, v25
	v_add_f32_e32 v25, v20, v24
	v_add_f32_e32 v24, v24, v32
	v_fmac_f32_e32 v22, 0.5, v12
	v_mul_f32_e32 v37, 0xbf5db3d7, v12
	v_fmac_f32_e32 v20, -0.5, v24
	v_add_f32_e32 v11, v17, v22
	v_fmac_f32_e32 v37, 0.5, v14
	v_add_f32_e32 v14, v36, v38
	v_sub_f32_e32 v17, v17, v22
	v_sub_f32_e32 v22, v36, v38
	v_add_f32_e32 v36, v25, v32
	v_sub_f32_e32 v23, v23, v31
	v_mov_b32_e32 v32, v20
	v_fmac_f32_e32 v32, 0xbf5db3d7, v23
	v_fmac_f32_e32 v20, 0x3f5db3d7, v23
	v_add_f32_e32 v23, v29, v27
	v_mul_f32_e32 v34, v39, v42
	v_add_f32_e32 v4, v4, v31
	v_add_f32_e32 v31, v23, v33
	v_add_f32_e32 v23, v27, v33
	v_fmac_f32_e32 v34, v40, v41
	v_fmac_f32_e32 v29, -0.5, v23
	v_sub_f32_e32 v23, v28, v34
	v_mov_b32_e32 v26, v29
	v_fmac_f32_e32 v26, 0x3f5db3d7, v23
	v_fmac_f32_e32 v29, 0xbf5db3d7, v23
	v_add_f32_e32 v23, v30, v28
	v_add_f32_e32 v12, v18, v37
	v_sub_f32_e32 v18, v18, v37
	v_add_f32_e32 v37, v23, v34
	v_add_f32_e32 v23, v28, v34
	v_fmac_f32_e32 v30, -0.5, v23
	v_sub_f32_e32 v23, v27, v33
	v_mov_b32_e32 v28, v30
	v_fmac_f32_e32 v28, 0xbf5db3d7, v23
	v_fmac_f32_e32 v30, 0x3f5db3d7, v23
	v_mul_f32_e32 v33, 0x3f5db3d7, v28
	v_mul_f32_e32 v34, -0.5, v29
	v_mul_f32_e32 v38, 0xbf5db3d7, v26
	v_mul_f32_e32 v39, -0.5, v30
	v_fmac_f32_e32 v33, 0.5, v26
	v_fmac_f32_e32 v34, 0x3f5db3d7, v30
	v_fmac_f32_e32 v38, 0.5, v28
	v_fmac_f32_e32 v39, 0xbf5db3d7, v29
	v_add_f32_e32 v23, v4, v31
	v_add_f32_e32 v25, v35, v33
	;; [unrolled: 1-line block ×6, first 2 shown]
	v_sub_f32_e32 v29, v4, v31
	v_sub_f32_e32 v31, v35, v33
	;; [unrolled: 1-line block ×6, first 2 shown]
	ds_write2_b64 v0, v[9:10], v[11:12] offset1:52
	ds_write2_b64 v0, v[13:14], v[15:16] offset0:104 offset1:156
	ds_write2_b64 v57, v[17:18], v[21:22] offset0:80 offset1:132
	;; [unrolled: 1-line block ×5, first 2 shown]
	s_waitcnt lgkmcnt(0)
	; wave barrier
	s_waitcnt lgkmcnt(0)
	s_and_saveexec_b64 s[4:5], s[0:1]
	s_cbranch_execz .LBB0_15
; %bb.14:
	v_mov_b32_e32 v4, 0
	v_lshlrev_b64 v[20:21], 3, v[3:4]
	v_mov_b32_e32 v10, s13
	v_add_co_u32_e32 v9, vcc, s12, v20
	v_addc_co_u32_e32 v10, vcc, v10, v21, vcc
	global_load_dwordx2 v[22:23], v[9:10], off offset:3640
	global_load_dwordx2 v[24:25], v[9:10], off offset:3224
	;; [unrolled: 1-line block ×4, first 2 shown]
	v_add_co_u32_e32 v11, vcc, 0x1000, v9
	v_addc_co_u32_e32 v12, vcc, 0, v10, vcc
	global_load_dwordx2 v[30:31], v[11:12], off offset:376
	global_load_dwordx2 v[32:33], v[9:10], off offset:4056
	v_mul_lo_u32 v46, s3, v5
	v_mul_lo_u32 v47, s2, v6
	v_mad_u64_u32 v[5:6], s[0:1], s2, v5, 0
	ds_read2_b64 v[8:11], v8 offset0:8 offset1:60
	ds_read_b32 v48, v0 offset:2084
	ds_read_b64 v[34:35], v0 offset:2080
	ds_read_b32 v49, v0 offset:1668
	ds_read_b64 v[36:37], v0 offset:1664
	ds_read2_b64 v[12:15], v7 offset0:160 offset1:212
	ds_read_b32 v50, v0 offset:1252
	ds_read_b64 v[38:39], v0 offset:1248
	ds_read_b32 v51, v0 offset:836
	ds_read_b64 v[40:41], v0 offset:832
	ds_read2_b64 v[16:19], v7 offset0:56 offset1:108
	ds_read_b64 v[42:43], v0
	ds_read_b32 v52, v0 offset:420
	ds_read_b64 v[44:45], v0 offset:416
	ds_read_b32 v0, v0 offset:4
	s_mov_b32 s0, 0x1a41a41b
	v_add3_u32 v6, v6, v47, v46
	v_lshlrev_b64 v[5:6], 3, v[5:6]
	v_mov_b32_e32 v53, s11
	v_add_co_u32_e32 v5, vcc, s10, v5
	v_addc_co_u32_e32 v6, vcc, v53, v6, vcc
	s_movk_i32 s1, 0x680
	s_waitcnt vmcnt(5) lgkmcnt(9)
	v_mul_f32_e32 v7, v22, v15
	v_mul_f32_e32 v15, v23, v15
	s_waitcnt vmcnt(3) lgkmcnt(4)
	v_mul_f32_e32 v47, v26, v19
	s_waitcnt vmcnt(2)
	v_mul_f32_e32 v54, v28, v17
	v_mul_f32_e32 v19, v27, v19
	v_fmac_f32_e32 v54, v29, v16
	v_mul_f32_e32 v46, v24, v13
	v_fmac_f32_e32 v7, v23, v14
	v_fma_f32 v14, v22, v14, -v15
	v_fmac_f32_e32 v47, v27, v18
	v_fma_f32 v15, v26, v18, -v19
	s_waitcnt lgkmcnt(3)
	v_sub_f32_e32 v18, v43, v54
	v_mul_f32_e32 v13, v25, v13
	v_fmac_f32_e32 v46, v25, v12
	s_waitcnt lgkmcnt(0)
	v_fma_f32 v25, v0, 2.0, -v18
	v_lshlrev_b64 v[0:1], 3, v[1:2]
	v_add_u32_e32 v2, 0xd0, v3
	v_lshrrev_b32_e32 v2, 3, v2
	v_mul_hi_u32 v2, v2, s0
	v_mul_f32_e32 v17, v29, v17
	v_add_co_u32_e32 v0, vcc, v5, v0
	v_fma_f32 v17, v28, v16, -v17
	v_addc_co_u32_e32 v1, vcc, v6, v1, vcc
	v_lshrrev_b32_e32 v2, 2, v2
	v_fma_f32 v13, v24, v12, -v13
	s_waitcnt vmcnt(1)
	v_mul_f32_e32 v19, v30, v11
	v_mul_f32_e32 v22, v31, v11
	v_sub_f32_e32 v11, v38, v14
	v_sub_f32_e32 v17, v42, v17
	v_add_co_u32_e32 v0, vcc, v0, v20
	v_mul_u32_u24_e32 v5, 0x138, v2
	v_mov_b32_e32 v6, v4
	v_add_u32_e32 v2, 0x104, v3
	s_waitcnt vmcnt(0)
	v_mul_f32_e32 v28, v32, v9
	v_mul_f32_e32 v9, v33, v9
	v_sub_f32_e32 v12, v39, v7
	v_sub_f32_e32 v14, v41, v46
	;; [unrolled: 1-line block ×5, first 2 shown]
	v_fma_f32 v7, v38, 2.0, -v11
	v_fma_f32 v24, v42, 2.0, -v17
	v_addc_co_u32_e32 v1, vcc, v1, v21, vcc
	v_lshlrev_b64 v[5:6], 3, v[5:6]
	v_lshrrev_b32_e32 v2, 3, v2
	v_fmac_f32_e32 v19, v31, v10
	v_fma_f32 v26, v10, v30, -v22
	v_fmac_f32_e32 v28, v33, v8
	v_fma_f32 v30, v32, v8, -v9
	v_fma_f32 v8, v50, 2.0, -v12
	v_fma_f32 v10, v51, 2.0, -v14
	;; [unrolled: 1-line block ×5, first 2 shown]
	global_store_dwordx2 v[0:1], v[24:25], off
	global_store_dwordx2 v[0:1], v[17:18], off offset:2496
	global_store_dwordx2 v[0:1], v[22:23], off offset:416
	;; [unrolled: 1-line block ×7, first 2 shown]
	v_mul_hi_u32 v7, v2, s0
	v_add_co_u32_e32 v5, vcc, v0, v5
	v_sub_f32_e32 v29, v37, v28
	v_sub_f32_e32 v28, v36, v30
	v_addc_co_u32_e32 v6, vcc, v1, v6, vcc
	v_fma_f32 v33, v49, 2.0, -v29
	v_fma_f32 v32, v36, 2.0, -v28
	v_add_co_u32_e32 v2, vcc, s1, v5
	v_addc_co_u32_e32 v3, vcc, 0, v6, vcc
	global_store_dwordx2 v[5:6], v[32:33], off offset:1664
	global_store_dwordx2 v[2:3], v[28:29], off offset:2496
	v_lshrrev_b32_e32 v2, 2, v7
	v_mul_u32_u24_e32 v3, 0x138, v2
	v_lshlrev_b64 v[2:3], 3, v[3:4]
	v_sub_f32_e32 v27, v35, v19
	v_add_co_u32_e32 v0, vcc, v0, v2
	v_sub_f32_e32 v26, v34, v26
	v_addc_co_u32_e32 v1, vcc, v1, v3, vcc
	v_fma_f32 v31, v48, 2.0, -v27
	v_fma_f32 v30, v34, 2.0, -v26
	v_add_co_u32_e32 v2, vcc, 0x820, v0
	v_addc_co_u32_e32 v3, vcc, 0, v1, vcc
	global_store_dwordx2 v[0:1], v[30:31], off offset:2080
	global_store_dwordx2 v[2:3], v[26:27], off offset:2496
.LBB0_15:
	s_endpgm
	.section	.rodata,"a",@progbits
	.p2align	6, 0x0
	.amdhsa_kernel fft_rtc_fwd_len624_factors_13_4_6_2_wgs_52_tpt_52_sp_op_CI_CI_unitstride_sbrr_dirReg
		.amdhsa_group_segment_fixed_size 0
		.amdhsa_private_segment_fixed_size 0
		.amdhsa_kernarg_size 104
		.amdhsa_user_sgpr_count 6
		.amdhsa_user_sgpr_private_segment_buffer 1
		.amdhsa_user_sgpr_dispatch_ptr 0
		.amdhsa_user_sgpr_queue_ptr 0
		.amdhsa_user_sgpr_kernarg_segment_ptr 1
		.amdhsa_user_sgpr_dispatch_id 0
		.amdhsa_user_sgpr_flat_scratch_init 0
		.amdhsa_user_sgpr_private_segment_size 0
		.amdhsa_uses_dynamic_stack 0
		.amdhsa_system_sgpr_private_segment_wavefront_offset 0
		.amdhsa_system_sgpr_workgroup_id_x 1
		.amdhsa_system_sgpr_workgroup_id_y 0
		.amdhsa_system_sgpr_workgroup_id_z 0
		.amdhsa_system_sgpr_workgroup_info 0
		.amdhsa_system_vgpr_workitem_id 0
		.amdhsa_next_free_vgpr 90
		.amdhsa_next_free_sgpr 28
		.amdhsa_reserve_vcc 1
		.amdhsa_reserve_flat_scratch 0
		.amdhsa_float_round_mode_32 0
		.amdhsa_float_round_mode_16_64 0
		.amdhsa_float_denorm_mode_32 3
		.amdhsa_float_denorm_mode_16_64 3
		.amdhsa_dx10_clamp 1
		.amdhsa_ieee_mode 1
		.amdhsa_fp16_overflow 0
		.amdhsa_exception_fp_ieee_invalid_op 0
		.amdhsa_exception_fp_denorm_src 0
		.amdhsa_exception_fp_ieee_div_zero 0
		.amdhsa_exception_fp_ieee_overflow 0
		.amdhsa_exception_fp_ieee_underflow 0
		.amdhsa_exception_fp_ieee_inexact 0
		.amdhsa_exception_int_div_zero 0
	.end_amdhsa_kernel
	.text
.Lfunc_end0:
	.size	fft_rtc_fwd_len624_factors_13_4_6_2_wgs_52_tpt_52_sp_op_CI_CI_unitstride_sbrr_dirReg, .Lfunc_end0-fft_rtc_fwd_len624_factors_13_4_6_2_wgs_52_tpt_52_sp_op_CI_CI_unitstride_sbrr_dirReg
                                        ; -- End function
	.section	.AMDGPU.csdata,"",@progbits
; Kernel info:
; codeLenInByte = 6884
; NumSgprs: 32
; NumVgprs: 90
; ScratchSize: 0
; MemoryBound: 0
; FloatMode: 240
; IeeeMode: 1
; LDSByteSize: 0 bytes/workgroup (compile time only)
; SGPRBlocks: 3
; VGPRBlocks: 22
; NumSGPRsForWavesPerEU: 32
; NumVGPRsForWavesPerEU: 90
; Occupancy: 2
; WaveLimiterHint : 1
; COMPUTE_PGM_RSRC2:SCRATCH_EN: 0
; COMPUTE_PGM_RSRC2:USER_SGPR: 6
; COMPUTE_PGM_RSRC2:TRAP_HANDLER: 0
; COMPUTE_PGM_RSRC2:TGID_X_EN: 1
; COMPUTE_PGM_RSRC2:TGID_Y_EN: 0
; COMPUTE_PGM_RSRC2:TGID_Z_EN: 0
; COMPUTE_PGM_RSRC2:TIDIG_COMP_CNT: 0
	.type	__hip_cuid_cbfbc473a6a27840,@object ; @__hip_cuid_cbfbc473a6a27840
	.section	.bss,"aw",@nobits
	.globl	__hip_cuid_cbfbc473a6a27840
__hip_cuid_cbfbc473a6a27840:
	.byte	0                               ; 0x0
	.size	__hip_cuid_cbfbc473a6a27840, 1

	.ident	"AMD clang version 19.0.0git (https://github.com/RadeonOpenCompute/llvm-project roc-6.4.0 25133 c7fe45cf4b819c5991fe208aaa96edf142730f1d)"
	.section	".note.GNU-stack","",@progbits
	.addrsig
	.addrsig_sym __hip_cuid_cbfbc473a6a27840
	.amdgpu_metadata
---
amdhsa.kernels:
  - .args:
      - .actual_access:  read_only
        .address_space:  global
        .offset:         0
        .size:           8
        .value_kind:     global_buffer
      - .offset:         8
        .size:           8
        .value_kind:     by_value
      - .actual_access:  read_only
        .address_space:  global
        .offset:         16
        .size:           8
        .value_kind:     global_buffer
      - .actual_access:  read_only
        .address_space:  global
        .offset:         24
        .size:           8
        .value_kind:     global_buffer
      - .actual_access:  read_only
        .address_space:  global
        .offset:         32
        .size:           8
        .value_kind:     global_buffer
      - .offset:         40
        .size:           8
        .value_kind:     by_value
      - .actual_access:  read_only
        .address_space:  global
        .offset:         48
        .size:           8
        .value_kind:     global_buffer
      - .actual_access:  read_only
        .address_space:  global
        .offset:         56
        .size:           8
        .value_kind:     global_buffer
      - .offset:         64
        .size:           4
        .value_kind:     by_value
      - .actual_access:  read_only
        .address_space:  global
        .offset:         72
        .size:           8
        .value_kind:     global_buffer
      - .actual_access:  read_only
        .address_space:  global
        .offset:         80
        .size:           8
        .value_kind:     global_buffer
      - .actual_access:  read_only
        .address_space:  global
        .offset:         88
        .size:           8
        .value_kind:     global_buffer
      - .actual_access:  write_only
        .address_space:  global
        .offset:         96
        .size:           8
        .value_kind:     global_buffer
    .group_segment_fixed_size: 0
    .kernarg_segment_align: 8
    .kernarg_segment_size: 104
    .language:       OpenCL C
    .language_version:
      - 2
      - 0
    .max_flat_workgroup_size: 52
    .name:           fft_rtc_fwd_len624_factors_13_4_6_2_wgs_52_tpt_52_sp_op_CI_CI_unitstride_sbrr_dirReg
    .private_segment_fixed_size: 0
    .sgpr_count:     32
    .sgpr_spill_count: 0
    .symbol:         fft_rtc_fwd_len624_factors_13_4_6_2_wgs_52_tpt_52_sp_op_CI_CI_unitstride_sbrr_dirReg.kd
    .uniform_work_group_size: 1
    .uses_dynamic_stack: false
    .vgpr_count:     90
    .vgpr_spill_count: 0
    .wavefront_size: 64
amdhsa.target:   amdgcn-amd-amdhsa--gfx906
amdhsa.version:
  - 1
  - 2
...

	.end_amdgpu_metadata
